;; amdgpu-corpus repo=ROCm/rocFFT kind=compiled arch=gfx906 opt=O3
	.text
	.amdgcn_target "amdgcn-amd-amdhsa--gfx906"
	.amdhsa_code_object_version 6
	.protected	fft_rtc_fwd_len510_factors_17_2_3_5_wgs_238_tpt_34_halfLds_half_op_CI_CI_unitstride_sbrr_dirReg ; -- Begin function fft_rtc_fwd_len510_factors_17_2_3_5_wgs_238_tpt_34_halfLds_half_op_CI_CI_unitstride_sbrr_dirReg
	.globl	fft_rtc_fwd_len510_factors_17_2_3_5_wgs_238_tpt_34_halfLds_half_op_CI_CI_unitstride_sbrr_dirReg
	.p2align	8
	.type	fft_rtc_fwd_len510_factors_17_2_3_5_wgs_238_tpt_34_halfLds_half_op_CI_CI_unitstride_sbrr_dirReg,@function
fft_rtc_fwd_len510_factors_17_2_3_5_wgs_238_tpt_34_halfLds_half_op_CI_CI_unitstride_sbrr_dirReg: ; @fft_rtc_fwd_len510_factors_17_2_3_5_wgs_238_tpt_34_halfLds_half_op_CI_CI_unitstride_sbrr_dirReg
; %bb.0:
	s_load_dwordx4 s[8:11], s[4:5], 0x58
	s_load_dwordx4 s[12:15], s[4:5], 0x0
	;; [unrolled: 1-line block ×3, first 2 shown]
	v_mul_u32_u24_e32 v1, 0x788, v0
	v_lshrrev_b32_e32 v1, 16, v1
	v_mad_u64_u32 v[1:2], s[0:1], s6, 7, v[1:2]
	v_mov_b32_e32 v6, 0
	v_mov_b32_e32 v2, v6
	s_waitcnt lgkmcnt(0)
	v_cmp_lt_u64_e64 s[0:1], s[14:15], 2
	v_mov_b32_e32 v10, 0
	v_mov_b32_e32 v11, 0
	;; [unrolled: 1-line block ×4, first 2 shown]
	s_and_b64 vcc, exec, s[0:1]
	v_mov_b32_e32 v5, v11
	v_mov_b32_e32 v8, v1
	s_cbranch_vccnz .LBB0_8
; %bb.1:
	s_load_dwordx2 s[0:1], s[4:5], 0x10
	s_add_u32 s2, s18, 8
	s_addc_u32 s3, s19, 0
	s_add_u32 s6, s16, 8
	s_addc_u32 s7, s17, 0
	v_mov_b32_e32 v10, 0
	s_waitcnt lgkmcnt(0)
	s_add_u32 s20, s0, 8
	v_mov_b32_e32 v11, 0
	v_mov_b32_e32 v4, v10
	;; [unrolled: 1-line block ×3, first 2 shown]
	s_addc_u32 s21, s1, 0
	s_mov_b64 s[22:23], 1
	v_mov_b32_e32 v5, v11
	v_mov_b32_e32 v2, v1
.LBB0_2:                                ; =>This Inner Loop Header: Depth=1
	s_load_dwordx2 s[24:25], s[20:21], 0x0
                                        ; implicit-def: $vgpr8_vgpr9
	s_waitcnt lgkmcnt(0)
	v_or_b32_e32 v7, s25, v3
	v_cmp_ne_u64_e32 vcc, 0, v[6:7]
	s_and_saveexec_b64 s[0:1], vcc
	s_xor_b64 s[26:27], exec, s[0:1]
	s_cbranch_execz .LBB0_4
; %bb.3:                                ;   in Loop: Header=BB0_2 Depth=1
	v_cvt_f32_u32_e32 v7, s24
	v_cvt_f32_u32_e32 v8, s25
	s_sub_u32 s0, 0, s24
	s_subb_u32 s1, 0, s25
	v_mac_f32_e32 v7, 0x4f800000, v8
	v_rcp_f32_e32 v7, v7
	v_mul_f32_e32 v7, 0x5f7ffffc, v7
	v_mul_f32_e32 v8, 0x2f800000, v7
	v_trunc_f32_e32 v8, v8
	v_mac_f32_e32 v7, 0xcf800000, v8
	v_cvt_u32_f32_e32 v8, v8
	v_cvt_u32_f32_e32 v7, v7
	v_mul_lo_u32 v9, s0, v8
	v_mul_hi_u32 v12, s0, v7
	v_mul_lo_u32 v14, s1, v7
	v_mul_lo_u32 v13, s0, v7
	v_add_u32_e32 v9, v12, v9
	v_add_u32_e32 v9, v9, v14
	v_mul_hi_u32 v12, v7, v13
	v_mul_lo_u32 v14, v7, v9
	v_mul_hi_u32 v16, v7, v9
	v_mul_hi_u32 v15, v8, v13
	v_mul_lo_u32 v13, v8, v13
	v_mul_hi_u32 v17, v8, v9
	v_add_co_u32_e32 v12, vcc, v12, v14
	v_addc_co_u32_e32 v14, vcc, 0, v16, vcc
	v_mul_lo_u32 v9, v8, v9
	v_add_co_u32_e32 v12, vcc, v12, v13
	v_addc_co_u32_e32 v12, vcc, v14, v15, vcc
	v_addc_co_u32_e32 v13, vcc, 0, v17, vcc
	v_add_co_u32_e32 v9, vcc, v12, v9
	v_addc_co_u32_e32 v12, vcc, 0, v13, vcc
	v_add_co_u32_e32 v7, vcc, v7, v9
	v_addc_co_u32_e32 v8, vcc, v8, v12, vcc
	v_mul_lo_u32 v9, s0, v8
	v_mul_hi_u32 v12, s0, v7
	v_mul_lo_u32 v13, s1, v7
	v_mul_lo_u32 v14, s0, v7
	v_add_u32_e32 v9, v12, v9
	v_add_u32_e32 v9, v9, v13
	v_mul_lo_u32 v15, v7, v9
	v_mul_hi_u32 v16, v7, v14
	v_mul_hi_u32 v17, v7, v9
	;; [unrolled: 1-line block ×3, first 2 shown]
	v_mul_lo_u32 v14, v8, v14
	v_mul_hi_u32 v12, v8, v9
	v_add_co_u32_e32 v15, vcc, v16, v15
	v_addc_co_u32_e32 v16, vcc, 0, v17, vcc
	v_mul_lo_u32 v9, v8, v9
	v_add_co_u32_e32 v14, vcc, v15, v14
	v_addc_co_u32_e32 v13, vcc, v16, v13, vcc
	v_addc_co_u32_e32 v12, vcc, 0, v12, vcc
	v_add_co_u32_e32 v9, vcc, v13, v9
	v_addc_co_u32_e32 v12, vcc, 0, v12, vcc
	v_add_co_u32_e32 v9, vcc, v7, v9
	v_addc_co_u32_e32 v12, vcc, v8, v12, vcc
	v_mad_u64_u32 v[7:8], s[0:1], v2, v12, 0
	v_mul_hi_u32 v13, v2, v9
	v_add_co_u32_e32 v14, vcc, v13, v7
	v_addc_co_u32_e32 v15, vcc, 0, v8, vcc
	v_mad_u64_u32 v[7:8], s[0:1], v3, v9, 0
	v_mad_u64_u32 v[12:13], s[0:1], v3, v12, 0
	v_add_co_u32_e32 v7, vcc, v14, v7
	v_addc_co_u32_e32 v7, vcc, v15, v8, vcc
	v_addc_co_u32_e32 v8, vcc, 0, v13, vcc
	v_add_co_u32_e32 v12, vcc, v7, v12
	v_addc_co_u32_e32 v9, vcc, 0, v8, vcc
	v_mul_lo_u32 v13, s25, v12
	v_mul_lo_u32 v14, s24, v9
	v_mad_u64_u32 v[7:8], s[0:1], s24, v12, 0
	v_add3_u32 v8, v8, v14, v13
	v_sub_u32_e32 v13, v3, v8
	v_mov_b32_e32 v14, s25
	v_sub_co_u32_e32 v7, vcc, v2, v7
	v_subb_co_u32_e64 v13, s[0:1], v13, v14, vcc
	v_subrev_co_u32_e64 v14, s[0:1], s24, v7
	v_subbrev_co_u32_e64 v13, s[0:1], 0, v13, s[0:1]
	v_cmp_le_u32_e64 s[0:1], s25, v13
	v_cndmask_b32_e64 v15, 0, -1, s[0:1]
	v_cmp_le_u32_e64 s[0:1], s24, v14
	v_cndmask_b32_e64 v14, 0, -1, s[0:1]
	v_cmp_eq_u32_e64 s[0:1], s25, v13
	v_cndmask_b32_e64 v13, v15, v14, s[0:1]
	v_add_co_u32_e64 v14, s[0:1], 2, v12
	v_addc_co_u32_e64 v15, s[0:1], 0, v9, s[0:1]
	v_add_co_u32_e64 v16, s[0:1], 1, v12
	v_addc_co_u32_e64 v17, s[0:1], 0, v9, s[0:1]
	v_subb_co_u32_e32 v8, vcc, v3, v8, vcc
	v_cmp_ne_u32_e64 s[0:1], 0, v13
	v_cmp_le_u32_e32 vcc, s25, v8
	v_cndmask_b32_e64 v13, v17, v15, s[0:1]
	v_cndmask_b32_e64 v15, 0, -1, vcc
	v_cmp_le_u32_e32 vcc, s24, v7
	v_cndmask_b32_e64 v7, 0, -1, vcc
	v_cmp_eq_u32_e32 vcc, s25, v8
	v_cndmask_b32_e32 v7, v15, v7, vcc
	v_cmp_ne_u32_e32 vcc, 0, v7
	v_cndmask_b32_e64 v7, v16, v14, s[0:1]
	v_cndmask_b32_e32 v9, v9, v13, vcc
	v_cndmask_b32_e32 v8, v12, v7, vcc
.LBB0_4:                                ;   in Loop: Header=BB0_2 Depth=1
	s_andn2_saveexec_b64 s[0:1], s[26:27]
	s_cbranch_execz .LBB0_6
; %bb.5:                                ;   in Loop: Header=BB0_2 Depth=1
	v_cvt_f32_u32_e32 v7, s24
	s_sub_i32 s26, 0, s24
	v_rcp_iflag_f32_e32 v7, v7
	v_mul_f32_e32 v7, 0x4f7ffffe, v7
	v_cvt_u32_f32_e32 v7, v7
	v_mul_lo_u32 v8, s26, v7
	v_mul_hi_u32 v8, v7, v8
	v_add_u32_e32 v7, v7, v8
	v_mul_hi_u32 v7, v2, v7
	v_mul_lo_u32 v8, v7, s24
	v_add_u32_e32 v9, 1, v7
	v_sub_u32_e32 v8, v2, v8
	v_subrev_u32_e32 v12, s24, v8
	v_cmp_le_u32_e32 vcc, s24, v8
	v_cndmask_b32_e32 v8, v8, v12, vcc
	v_cndmask_b32_e32 v7, v7, v9, vcc
	v_add_u32_e32 v9, 1, v7
	v_cmp_le_u32_e32 vcc, s24, v8
	v_cndmask_b32_e32 v8, v7, v9, vcc
	v_mov_b32_e32 v9, v6
.LBB0_6:                                ;   in Loop: Header=BB0_2 Depth=1
	s_or_b64 exec, exec, s[0:1]
	v_mul_lo_u32 v7, v9, s24
	v_mul_lo_u32 v14, v8, s25
	v_mad_u64_u32 v[12:13], s[0:1], v8, s24, 0
	s_load_dwordx2 s[0:1], s[6:7], 0x0
	s_load_dwordx2 s[24:25], s[2:3], 0x0
	v_add3_u32 v7, v13, v14, v7
	v_sub_co_u32_e32 v2, vcc, v2, v12
	v_subb_co_u32_e32 v3, vcc, v3, v7, vcc
	s_waitcnt lgkmcnt(0)
	v_mul_lo_u32 v7, s0, v3
	v_mul_lo_u32 v12, s1, v2
	v_mad_u64_u32 v[10:11], s[0:1], s0, v2, v[10:11]
	v_mul_lo_u32 v3, s24, v3
	v_mul_lo_u32 v13, s25, v2
	v_mad_u64_u32 v[4:5], s[0:1], s24, v2, v[4:5]
	s_add_u32 s22, s22, 1
	s_addc_u32 s23, s23, 0
	s_add_u32 s2, s2, 8
	v_add3_u32 v5, v13, v5, v3
	s_addc_u32 s3, s3, 0
	v_mov_b32_e32 v2, s14
	s_add_u32 s6, s6, 8
	v_mov_b32_e32 v3, s15
	s_addc_u32 s7, s7, 0
	v_cmp_ge_u64_e32 vcc, s[22:23], v[2:3]
	s_add_u32 s20, s20, 8
	v_add3_u32 v11, v12, v11, v7
	s_addc_u32 s21, s21, 0
	s_cbranch_vccnz .LBB0_8
; %bb.7:                                ;   in Loop: Header=BB0_2 Depth=1
	v_mov_b32_e32 v2, v8
	v_mov_b32_e32 v3, v9
	s_branch .LBB0_2
.LBB0_8:
	s_load_dwordx2 s[0:1], s[4:5], 0x28
	s_mov_b32 s4, 0x7878788
	v_mul_hi_u32 v2, v0, s4
	s_lshl_b64 s[2:3], s[14:15], 3
	s_add_u32 s4, s18, s2
	s_waitcnt lgkmcnt(0)
	v_cmp_gt_u64_e32 vcc, s[0:1], v[8:9]
	v_mul_u32_u24_e32 v2, 34, v2
	v_sub_u32_e32 v6, v0, v2
	v_cmp_gt_u32_e64 s[0:1], 30, v6
	s_addc_u32 s5, s19, s3
	s_and_b64 s[14:15], vcc, s[0:1]
	v_mov_b32_e32 v12, 0
	v_mov_b32_e32 v0, 0
                                        ; implicit-def: $vgpr13
                                        ; implicit-def: $vgpr27
                                        ; implicit-def: $vgpr14
                                        ; implicit-def: $vgpr30
                                        ; implicit-def: $vgpr15
                                        ; implicit-def: $vgpr31
                                        ; implicit-def: $vgpr16
                                        ; implicit-def: $vgpr32
                                        ; implicit-def: $vgpr17
                                        ; implicit-def: $vgpr33
                                        ; implicit-def: $vgpr18
                                        ; implicit-def: $vgpr34
                                        ; implicit-def: $vgpr19
                                        ; implicit-def: $vgpr35
                                        ; implicit-def: $vgpr20
                                        ; implicit-def: $vgpr36
                                        ; implicit-def: $vgpr21
                                        ; implicit-def: $vgpr37
                                        ; implicit-def: $vgpr22
                                        ; implicit-def: $vgpr38
                                        ; implicit-def: $vgpr23
                                        ; implicit-def: $vgpr39
                                        ; implicit-def: $vgpr24
                                        ; implicit-def: $vgpr40
                                        ; implicit-def: $vgpr25
                                        ; implicit-def: $vgpr41
                                        ; implicit-def: $vgpr26
                                        ; implicit-def: $vgpr42
                                        ; implicit-def: $vgpr28
                                        ; implicit-def: $vgpr43
                                        ; implicit-def: $vgpr29
                                        ; implicit-def: $vgpr44
	s_and_saveexec_b64 s[6:7], s[14:15]
	s_cbranch_execz .LBB0_10
; %bb.9:
	s_add_u32 s2, s16, s2
	s_addc_u32 s3, s17, s3
	s_load_dwordx2 s[2:3], s[2:3], 0x0
	v_mov_b32_e32 v13, s9
	v_mov_b32_e32 v7, 0
	s_waitcnt lgkmcnt(0)
	v_mul_lo_u32 v0, s3, v8
	v_mul_lo_u32 v12, s2, v9
	v_mad_u64_u32 v[2:3], s[2:3], s2, v8, 0
	v_add3_u32 v3, v3, v12, v0
	v_lshlrev_b64 v[2:3], 2, v[2:3]
	v_add_co_u32_e64 v0, s[2:3], s8, v2
	v_addc_co_u32_e64 v12, s[2:3], v13, v3, s[2:3]
	v_lshlrev_b64 v[2:3], 2, v[10:11]
	v_add_co_u32_e64 v0, s[2:3], v0, v2
	v_addc_co_u32_e64 v10, s[2:3], v12, v3, s[2:3]
	;; [unrolled: 3-line block ×3, first 2 shown]
	global_load_dword v0, v[2:3], off
	global_load_dword v27, v[2:3], off offset:120
	global_load_dword v30, v[2:3], off offset:240
	;; [unrolled: 1-line block ×16, first 2 shown]
	s_waitcnt vmcnt(16)
	v_lshrrev_b32_e32 v12, 16, v0
	s_waitcnt vmcnt(15)
	v_lshrrev_b32_e32 v13, 16, v27
	;; [unrolled: 2-line block ×17, first 2 shown]
.LBB0_10:
	s_or_b64 exec, exec, s[6:7]
	s_mov_b32 s2, 0x24924925
	v_mul_hi_u32 v3, v1, s2
	v_add_f16_e32 v2, v27, v44
	s_mov_b32 s2, 0x39e93722
	v_sub_f16_e32 v45, v13, v29
	v_sub_u32_e32 v7, v1, v3
	v_lshrrev_b32_e32 v7, 1, v7
	v_add_u32_e32 v3, v7, v3
	v_lshrrev_b32_e32 v3, 2, v3
	v_mul_lo_u32 v3, v3, 7
	v_add_f16_e32 v10, v30, v43
	v_pk_mul_f16 v73, v2, s2 op_sel_hi:[0,1]
	s_mov_b32 s8, 0xb964bb29
	s_mov_b32 s2, 0x2de8b8d2
	v_sub_f16_e32 v48, v14, v28
	v_add_f16_e32 v11, v31, v42
	v_sub_u32_e32 v1, v1, v3
	v_pk_fma_f16 v3, v45, s8, v73 op_sel_hi:[0,1,1]
	v_pk_mul_f16 v74, v10, s2 op_sel_hi:[0,1]
	s_mov_b32 s9, 0xbbf7ba62
	s_mov_b32 s2, 0xb8d2bbdd
	v_sub_f16_e32 v46, v15, v26
	v_pk_add_f16 v3, v0, v3 op_sel_hi:[0,1]
	v_pk_fma_f16 v7, v48, s9, v74 op_sel_hi:[0,1,1]
	v_pk_mul_f16 v72, v11, s2 op_sel_hi:[0,1]
	s_mov_b32 s14, 0xba6231e1
	s_mov_b32 s2, 0xbbddb461
	v_add_f16_e32 v62, v32, v41
	v_pk_add_f16 v3, v7, v3
	v_pk_fma_f16 v7, v46, s14, v72 op_sel_hi:[0,1,1]
	s_mov_b32 s15, 0xb1e13bb2
	v_sub_f16_e32 v64, v16, v25
	v_pk_mul_f16 v75, v62, s2 op_sel_hi:[0,1]
	s_mov_b32 s2, 0xbacd39e9
	v_add_f16_e32 v63, v33, v40
	v_pk_add_f16 v3, v7, v3
	v_pk_fma_f16 v7, v64, s15, v75 op_sel_hi:[0,1,1]
	s_mov_b32 s16, 0x38363964
	v_sub_f16_e32 v66, v17, v24
	v_pk_mul_f16 v76, v63, s2 op_sel_hi:[0,1]
	;; [unrolled: 7-line block ×4, first 2 shown]
	s_mov_b32 s2, 0x3b76bacd
	v_add_f16_e32 v71, v36, v37
	v_pk_add_f16 v3, v7, v3
	v_pk_fma_f16 v7, v67, s18, v78 op_sel_hi:[0,1,1]
	v_mul_u32_u24_e32 v1, 0x1fe, v1
	s_mov_b32 s19, 0x35c8b836
	v_sub_f16_e32 v70, v20, v21
	v_pk_mul_f16 v79, v71, s2 op_sel_hi:[0,1]
	v_pk_add_f16 v3, v7, v3
	v_lshlrev_b32_e32 v7, 1, v1
	v_pk_fma_f16 v1, v70, s19, v79 op_sel_hi:[0,1,1]
	v_pk_add_f16 v3, v1, v3
	s_and_saveexec_b64 s[2:3], s[0:1]
	s_cbranch_execz .LBB0_12
; %bb.11:
	v_pack_b32_f16 v58, v45, v45
	s_mov_b32 s22, 0xbbb2bbf7
	v_pack_b32_f16 v57, v2, v2
	s_mov_b32 s6, 0x5040100
	;; [unrolled: 2-line block ×3, first 2 shown]
	v_pk_mul_f16 v83, v58, s22
	s_mov_b32 s23, 0x3836b1e1
	v_perm_b32 v61, v0, v0, s6
	v_pack_b32_f16 v59, v10, v10
	v_pack_b32_f16 v56, v46, v46
	s_mov_b32 s22, 0xbacdbbdd
	v_pk_mul_f16 v84, v60, s23
	s_mov_b32 s24, 0x39643bb2
	v_pk_fma_f16 v80, v57, s21, v83 neg_lo:[0,0,1] neg_hi:[0,0,1]
	v_pack_b32_f16 v55, v11, v11
	v_pack_b32_f16 v54, v64, v64
	s_mov_b32 s23, 0x39e9b461
	v_pk_mul_f16 v85, v56, s24
	s_mov_b32 s25, 0xbb2935c8
	v_pk_add_f16 v80, v61, v80
	v_pk_fma_f16 v81, v59, s22, v84 neg_lo:[0,0,1] neg_hi:[0,0,1]
	v_pack_b32_f16 v53, v62, v62
	v_pack_b32_f16 v52, v66, v66
	s_mov_b32 s24, 0x37223b76
	v_pk_mul_f16 v86, v54, s25
	s_mov_b32 s26, 0xb1e1bb29
	v_pk_add_f16 v80, v81, v80
	;; [unrolled: 7-line block ×4, first 2 shown]
	v_pk_fma_f16 v81, v51, s25, v87 neg_lo:[0,0,1] neg_hi:[0,0,1]
	v_pack_b32_f16 v1, v68, v68
	s_mov_b32 s7, 0xb836ba62
	s_mov_b32 s27, 0x3b76b8d2
	v_pk_mul_f16 v89, v47, s28
	v_pk_add_f16 v80, v81, v80
	v_pk_fma_f16 v81, v49, s26, v88 neg_lo:[0,0,1] neg_hi:[0,0,1]
	s_mov_b32 s6, 0xbacdb8d2
	v_pk_mul_f16 v82, v58, s7
	s_mov_b32 s20, 0x3b293bb2
	v_pk_add_f16 v80, v81, v80
	v_pk_fma_f16 v81, v1, s27, v89 neg_lo:[0,0,1] neg_hi:[0,0,1]
	s_mov_b32 s7, 0x3722b461
	v_pk_add_f16 v80, v81, v80
	v_pk_fma_f16 v81, v57, s6, v82 neg_lo:[0,0,1] neg_hi:[0,0,1]
	v_pk_mul_f16 v90, v60, s20
	v_pk_add_f16 v81, v61, v81
	v_pk_fma_f16 v91, v59, s7, v90 neg_lo:[0,0,1] neg_hi:[0,0,1]
	s_mov_b32 s21, 0xbbf7b5c8
	v_pk_add_f16 v81, v91, v81
	s_mov_b32 s20, 0x2de83b76
	v_pk_mul_f16 v91, v56, s21
	v_pk_fma_f16 v92, v55, s20, v91 neg_lo:[0,0,1] neg_hi:[0,0,1]
	s_mov_b32 s22, 0x3a62b836
	v_pk_add_f16 v81, v92, v81
	s_mov_b32 s21, 0xb8d2bacd
	v_pk_mul_f16 v92, v54, s22
	;; [unrolled: 5-line block ×5, first 2 shown]
	v_pk_fma_f16 v96, v1, s24, v95 neg_lo:[0,0,1] neg_hi:[0,0,1]
	s_mov_b32 s28, 0xba623964
	v_pack_b32_f16 v97, v70, v70
	v_pk_add_f16 v81, v96, v81
	s_mov_b32 s26, 0xbbb23b29
	s_mov_b32 s27, 0xb8d239e9
	v_pack_b32_f16 v96, v71, v71
	v_pk_mul_f16 v99, v97, s28
	s_mov_b32 s25, 0xb4613722
	v_pk_mul_f16 v98, v97, s26
	v_pk_fma_f16 v100, v96, s27, v99 neg_lo:[0,0,1] neg_hi:[0,0,1]
	v_pk_fma_f16 v101, v96, s25, v98 neg_lo:[0,0,1] neg_hi:[0,0,1]
	v_pk_add_f16 v80, v100, v80
	v_pk_mul_f16 v100, v45, s8 op_sel_hi:[0,1]
	v_pk_add_f16 v81, v101, v81
	v_sub_f16_e32 v101, v73, v100
	v_pk_mul_f16 v102, v48, s9 op_sel_hi:[0,1]
	v_add_f16_e32 v101, v0, v101
	v_sub_f16_e32 v103, v74, v102
	v_add_f16_e32 v101, v103, v101
	v_pk_mul_f16 v103, v46, s14 op_sel_hi:[0,1]
	v_sub_f16_e32 v104, v72, v103
	v_add_f16_e32 v101, v104, v101
	v_pk_mul_f16 v104, v64, s15 op_sel_hi:[0,1]
	;; [unrolled: 3-line block ×6, first 2 shown]
	v_sub_f16_e32 v109, v79, v108
	v_add_f16_e32 v101, v109, v101
	s_mov_b32 s8, 0xffff
	v_mul_f16_e32 v109, 0xb5c8, v45
	v_bfi_b32 v100, s8, v109, v100
	v_mul_f16_e32 v109, 0x3b76, v2
	v_bfi_b32 v73, s8, v109, v73
	v_pk_add_f16 v73, v73, v100 neg_lo:[0,1] neg_hi:[0,1]
	v_mul_f16_e32 v100, 0xb964, v48
	v_bfi_b32 v100, s8, v100, v102
	v_mul_f16_e32 v102, 0x39e9, v10
	v_bfi_b32 v74, s8, v102, v74
	v_pk_add_f16 v74, v74, v100 neg_lo:[0,1] neg_hi:[0,1]
	v_pk_add_f16 v73, v61, v73
	v_pk_add_f16 v73, v74, v73
	v_mul_f16_e32 v74, 0xbb29, v46
	v_mul_f16_e32 v100, 0x3722, v11
	v_bfi_b32 v74, s8, v74, v103
	v_bfi_b32 v72, s8, v100, v72
	v_pk_add_f16 v72, v72, v74 neg_lo:[0,1] neg_hi:[0,1]
	v_pk_add_f16 v72, v72, v73
	v_mul_f16_e32 v73, 0xbbf7, v64
	v_mul_f16_e32 v74, 0x2de8, v62
	v_bfi_b32 v73, s8, v73, v104
	v_bfi_b32 v75, s8, v74, v75
	v_pk_add_f16 v73, v75, v73 neg_lo:[0,1] neg_hi:[0,1]
	;; [unrolled: 6-line block ×6, first 2 shown]
	v_pk_add_f16 v72, v73, v72
	v_add_f16_e32 v73, v0, v27
	v_add_f16_e32 v73, v73, v30
	;; [unrolled: 1-line block ×16, first 2 shown]
	v_alignbit_b32 v79, v101, v72, 16
	v_pack_b32_f16 v78, v73, v72
	v_mul_u32_u24_e32 v72, 34, v6
	v_add3_u32 v72, 0, v72, v7
	s_mov_b32 s9, 0xbbdd
	v_mul_f16_e32 v73, 0xb1e1, v45
	ds_write_b128 v72, v[78:81]
	s_movk_i32 s14, 0x3b76
	v_fma_f16 v78, v2, s9, -v73
	v_mul_f16_e32 v79, 0x35c8, v48
	v_add_f16_e32 v78, v0, v78
	v_fma_f16 v80, v10, s14, -v79
	v_add_f16_e32 v78, v80, v78
	s_mov_b32 s15, 0xbacd
	v_mul_f16_e32 v80, 0xb836, v46
	v_fma_f16 v81, v11, s15, -v80
	v_add_f16_e32 v78, v81, v78
	s_movk_i32 s16, 0x39e9
	v_mul_f16_e32 v81, 0x3964, v64
	s_movk_i32 s26, 0x2de8
	v_fma_f16 v84, v59, s9, v84
	s_mov_b32 s9, 0xb5c8
	v_fma_f16 v101, v62, s16, -v81
	v_fma_f16 v83, v57, s26, v83
	v_fma_f16 v45, v45, s9, v109
	s_mov_b32 s9, 0xb964
	v_add_f16_e32 v78, v101, v78
	s_mov_b32 s17, 0xb8d2
	v_mul_f16_e32 v101, 0xba62, v66
	v_add_f16_e32 v83, v0, v83
	v_add_f16_e32 v0, v0, v45
	v_fma_f16 v45, v48, s9, v102
	s_mov_b32 s9, 0xbb29
	v_fma_f16 v104, v63, s17, -v101
	v_add_f16_e32 v0, v45, v0
	v_fma_f16 v45, v46, s9, v100
	s_mov_b32 s9, 0xbbf7
	v_add_f16_e32 v78, v104, v78
	s_movk_i32 s18, 0x3722
	v_mul_f16_e32 v104, 0x3b29, v69
	v_add_f16_e32 v0, v45, v0
	v_fma_f16 v45, v64, s9, v74
	s_mov_b32 s9, 0xbbb2
	v_fma_f16 v105, v65, s18, -v104
	v_add_f16_e32 v0, v45, v0
	v_fma_f16 v45, v66, s9, v75
	s_mov_b32 s9, 0xba62
	v_add_f16_e32 v78, v105, v78
	s_mov_b32 s19, 0xb461
	v_mul_f16_e32 v105, 0xbbb2, v67
	v_add_f16_e32 v0, v45, v0
	v_fma_f16 v45, v69, s9, v76
	v_fma_f16 v106, v68, s19, -v105
	v_add_f16_e32 v83, v84, v83
	v_fma_f16 v84, v55, s19, v85
	v_mul_f16_e32 v2, 0xbbdd, v2
	v_add_f16_e32 v0, v45, v0
	v_pk_mul_f16 v45, v57, s6
	v_add_f16_e32 v78, v106, v78
	v_mul_f16_e32 v106, 0x3bf7, v70
	v_add_f16_e32 v83, v84, v83
	v_fma_f16 v84, v53, s14, v86
	v_mul_f16_e32 v10, 0x3b76, v10
	s_mov_b32 s14, 0xb836
	v_pk_mul_f16 v66, v59, s7
	v_bfi_b32 v69, s8, v73, v82
	v_bfi_b32 v2, s8, v2, v45
	v_fma_f16 v107, v71, s26, -v106
	v_mul_f16_e32 v46, 0x39e9, v62
	v_mul_f16_e32 v62, 0x3722, v65
	;; [unrolled: 1-line block ×3, first 2 shown]
	v_fma_f16 v65, v67, s14, v77
	v_pk_add_f16 v2, v69, v2
	v_bfi_b32 v71, s8, v79, v90
	v_bfi_b32 v10, s8, v10, v66
	v_mul_f16_e32 v11, 0xbacd, v11
	v_add_f16_e32 v0, v65, v0
	v_pk_mul_f16 v65, v55, s20
	v_pk_add_f16 v2, v61, v2
	v_pk_add_f16 v10, v71, v10
	;; [unrolled: 1-line block ×3, first 2 shown]
	v_bfi_b32 v10, s8, v80, v91
	v_bfi_b32 v11, s8, v11, v65
	s_mov_b32 s9, 0xb1e1
	v_mul_f16_e32 v48, 0xb8d2, v63
	v_mul_f16_e32 v63, 0xb461, v68
	v_pk_mul_f16 v68, v53, s21
	v_pk_add_f16 v10, v10, v11
	v_fma_f16 v67, v70, s9, v103
	v_pk_add_f16 v2, v10, v2
	v_bfi_b32 v10, s8, v81, v92
	v_bfi_b32 v11, s8, v46, v68
	v_add_f16_e32 v67, v67, v0
	v_pk_mul_f16 v0, v51, s22
	v_pk_add_f16 v10, v10, v11
	v_pk_add_f16 v2, v10, v2
	v_bfi_b32 v10, s8, v101, v93
	v_bfi_b32 v0, s8, v48, v0
	v_pk_mul_f16 v70, v49, s23
	v_pk_add_f16 v0, v10, v0
	v_pk_add_f16 v0, v0, v2
	v_bfi_b32 v2, s8, v104, v94
	v_bfi_b32 v10, s8, v62, v70
	;; [unrolled: 5-line block ×4, first 2 shown]
	v_pk_add_f16 v2, v2, v10
	s_mov_b32 s7, 0xb461b8d2
	v_pk_add_f16 v0, v2, v0
	s_mov_b32 s6, 0xbbb2ba62
	v_pk_mul_f16 v2, v57, s7
	s_mov_b32 s7, 0xbacdb461
	v_pk_fma_f16 v2, v58, s6, v2
	s_mov_b32 s6, 0x38363bb2
	v_pk_mul_f16 v10, v59, s7
	v_pk_add_f16 v2, v61, v2
	v_pk_fma_f16 v10, v60, s6, v10
	s_mov_b32 s7, 0x39e93b76
	v_pk_add_f16 v2, v10, v2
	s_mov_b32 s6, 0x3964b5c8
	v_pk_mul_f16 v10, v55, s7
	v_pk_fma_f16 v10, v56, s6, v10
	s_mov_b32 s7, 0x3722bacd
	v_pk_add_f16 v2, v10, v2
	s_mov_b32 s6, 0xbb29b836
	v_pk_mul_f16 v10, v53, s7
	;; [unrolled: 5-line block ×3, first 2 shown]
	v_add_f16_e32 v83, v84, v83
	v_fma_f16 v84, v51, s18, v87
	v_pk_fma_f16 v10, v52, s6, v10
	s_mov_b32 s7, 0x2de839e9
	v_add_f16_e32 v83, v84, v83
	v_fma_f16 v84, v49, s15, v88
	v_pk_add_f16 v2, v10, v2
	s_mov_b32 s6, 0x3bf7b964
	v_pk_mul_f16 v10, v49, s7
	s_mov_b32 s7, 0x3b76bbdd
	v_add_f16_e32 v83, v84, v83
	v_fma_f16 v84, v1, s17, v89
	v_pk_fma_f16 v10, v50, s6, v10
	s_mov_b32 s6, 0xb5c8b1e1
	v_pk_mul_f16 v1, v1, s7
	v_pk_add_f16 v2, v10, v2
	v_pk_fma_f16 v1, v47, s6, v1
	s_mov_b32 s7, 0xb8d23722
	v_pk_add_f16 v1, v1, v2
	s_mov_b32 s6, 0xba623b29
	v_pk_mul_f16 v2, v96, s7
	v_add_f16_e32 v83, v84, v83
	v_fma_f16 v84, v96, s16, v99
	v_pk_fma_f16 v2, v97, s6, v2
	v_add_f16_e32 v78, v107, v78
	v_add_f16_e32 v83, v84, v83
	v_pk_add_f16 v2, v2, v1
	v_alignbit_b32 v1, v2, v0, 16
	v_pack_b32_f16 v0, v78, v0
	v_alignbit_b32 v2, v83, v2, 16
	ds_write_b128 v72, v[0:3] offset:16
	ds_write_b16 v72, v67 offset:32
.LBB0_12:
	s_or_b64 exec, exec, s[2:3]
	v_lshlrev_b32_e32 v0, 1, v6
	v_add3_u32 v2, 0, v7, v0
	v_add_u32_e32 v11, 0, v0
	s_waitcnt lgkmcnt(0)
	s_barrier
	v_add_u32_e32 v10, v11, v7
	ds_read_u16 v57, v2
	ds_read_u16 v51, v10 offset:68
	ds_read_u16 v52, v10 offset:136
	;; [unrolled: 1-line block ×13, first 2 shown]
	v_cmp_gt_u32_e64 s[2:3], 17, v6
	s_and_saveexec_b64 s[6:7], s[2:3]
	s_cbranch_execz .LBB0_14
; %bb.13:
	ds_read_u16 v3, v10 offset:476
	ds_read_u16 v58, v10 offset:986
	s_mov_b32 s8, 0x5040100
	s_waitcnt lgkmcnt(0)
	v_perm_b32 v3, v58, v3, s8
.LBB0_14:
	s_or_b64 exec, exec, s[6:7]
	v_sub_f16_e32 v66, v27, v44
	s_mov_b32 s6, 0xb964bb29
	v_add_f16_e32 v65, v13, v29
	v_sub_f16_e32 v64, v30, v43
	v_sub_f16_e32 v60, v32, v41
	s_mov_b32 s8, 0x39e93722
	v_pk_mul_f16 v32, v66, s6 op_sel_hi:[0,1]
	s_mov_b32 s6, 0xbbf7ba62
	v_add_f16_e32 v63, v14, v28
	v_sub_f16_e32 v62, v31, v42
	v_sub_f16_e32 v58, v33, v40
	v_pk_fma_f16 v27, v65, s8, v32 op_sel_hi:[0,1,1] neg_lo:[0,0,1] neg_hi:[0,0,1]
	s_mov_b32 s9, 0x2de8b8d2
	v_pk_mul_f16 v33, v64, s6 op_sel_hi:[0,1]
	s_mov_b32 s6, 0xba6231e1
	v_add_f16_e32 v61, v15, v26
	v_sub_f16_e32 v43, v34, v39
	v_sub_f16_e32 v41, v35, v38
	v_pk_add_f16 v27, v12, v27 op_sel_hi:[0,1]
	v_pk_fma_f16 v34, v63, s9, v33 op_sel_hi:[0,1,1] neg_lo:[0,0,1] neg_hi:[0,0,1]
	s_mov_b32 s14, 0xb8d2bbdd
	v_pk_mul_f16 v35, v62, s6 op_sel_hi:[0,1]
	s_mov_b32 s6, 0xb1e13bb2
	v_add_f16_e32 v59, v16, v25
	v_sub_f16_e32 v31, v36, v37
	v_pk_add_f16 v27, v34, v27
	v_pk_fma_f16 v34, v61, s14, v35 op_sel_hi:[0,1,1] neg_lo:[0,0,1] neg_hi:[0,0,1]
	s_mov_b32 s15, 0xbbddb461
	v_pk_mul_f16 v36, v60, s6 op_sel_hi:[0,1]
	s_mov_b32 s6, 0x38363964
	v_add_f16_e32 v44, v17, v24
	v_pk_add_f16 v27, v34, v27
	v_pk_fma_f16 v34, v59, s15, v36 op_sel_hi:[0,1,1] neg_lo:[0,0,1] neg_hi:[0,0,1]
	s_mov_b32 s16, 0xbacd39e9
	v_pk_mul_f16 v37, v58, s6 op_sel_hi:[0,1]
	s_mov_b32 s6, 0x3bb2b5c8
	v_add_f16_e32 v42, v18, v23
	;; [unrolled: 6-line block ×3, first 2 shown]
	v_pk_add_f16 v27, v34, v27
	v_pk_fma_f16 v34, v42, s17, v38 op_sel_hi:[0,1,1] neg_lo:[0,0,1] neg_hi:[0,0,1]
	s_mov_b32 s18, 0x37222de8
	v_pk_mul_f16 v39, v41, s6 op_sel_hi:[0,1]
	v_pk_add_f16 v27, v34, v27
	v_pk_fma_f16 v34, v40, s18, v39 op_sel_hi:[0,1,1] neg_lo:[0,0,1] neg_hi:[0,0,1]
	s_mov_b32 s6, 0x35c8b836
	v_add_f16_e32 v30, v20, v21
	v_pk_add_f16 v27, v34, v27
	s_mov_b32 s19, 0x3b76bacd
	v_pk_mul_f16 v34, v31, s6 op_sel_hi:[0,1]
	v_pk_fma_f16 v67, v30, s19, v34 op_sel_hi:[0,1,1] neg_lo:[0,0,1] neg_hi:[0,0,1]
	v_pk_add_f16 v27, v67, v27
	s_waitcnt lgkmcnt(0)
	s_barrier
	s_and_saveexec_b64 s[6:7], s[0:1]
	s_cbranch_execz .LBB0_16
; %bb.15:
	v_add_f16_e32 v13, v12, v13
	v_add_f16_e32 v13, v13, v14
	;; [unrolled: 1-line block ×7, first 2 shown]
	s_movk_i32 s1, 0x3b76
	v_mul_f16_e32 v14, 0xb5c8, v66
	v_pk_mul_f16 v72, v63, s9 op_sel_hi:[0,1]
	v_add_f16_e32 v13, v13, v20
	v_fma_f16 v15, v65, s1, -v14
	s_movk_i32 s9, 0x39e9
	v_mul_f16_e32 v20, 0xb964, v64
	v_pk_mul_f16 v68, v65, s8 op_sel_hi:[0,1]
	v_add_f16_e32 v13, v13, v21
	v_add_f16_e32 v15, v12, v15
	v_mul_f16_e32 v17, 0xbbf7, v66
	s_movk_i32 s8, 0x2de8
	v_fma_f16 v21, v63, s9, -v20
	v_pk_mul_f16 v75, v61, s14 op_sel_hi:[0,1]
	v_fma_f16 v18, v65, s8, v17
	v_add_f16_e32 v15, v21, v15
	v_mul_f16_e32 v21, 0xb1e1, v64
	s_mov_b32 s14, 0xbbdd
	v_add_f16_e32 v13, v13, v22
	v_add_f16_e32 v18, v12, v18
	v_fma_f16 v22, v63, s14, v21
	v_pk_mul_f16 v78, v59, s15 op_sel_hi:[0,1]
	v_add_f16_e32 v18, v22, v18
	s_movk_i32 s15, 0x3722
	v_mul_f16_e32 v22, 0xbb29, v62
	v_add_f16_e32 v13, v13, v23
	v_fma_f16 v23, v61, s15, -v22
	v_pk_mul_f16 v81, v44, s16 op_sel_hi:[0,1]
	v_add_f16_e32 v15, v23, v15
	v_mul_f16_e32 v23, 0x3bb2, v62
	s_mov_b32 s16, 0xb461
	v_add_f16_e32 v13, v13, v24
	v_fma_f16 v24, v61, s16, v23
	v_add_f16_e32 v18, v24, v18
	v_mul_f16_e32 v24, 0xbbf7, v60
	v_add_f16_e32 v13, v13, v25
	v_fma_f16 v25, v59, s8, -v24
	v_add_f16_e32 v15, v25, v15
	v_mul_f16_e32 v25, 0x35c8, v60
	v_add_f16_e32 v13, v13, v26
	v_fma_f16 v26, v59, s1, v25
	v_add_f16_e32 v18, v26, v18
	v_mul_f16_e32 v26, 0xbbb2, v58
	v_add_f16_e32 v13, v13, v28
	v_fma_f16 v17, v65, s8, -v17
	v_fma_f16 v28, v44, s16, -v26
	v_add_f16_e32 v17, v12, v17
	v_fma_f16 v21, v63, s14, -v21
	v_add_f16_e32 v15, v28, v15
	v_mul_f16_e32 v28, 0xbb29, v58
	v_add_f16_e32 v16, v13, v29
	v_add_f16_e32 v17, v21, v17
	v_fma_f16 v23, v61, s16, -v23
	v_fma_f16 v29, v44, s15, v28
	v_add_f16_e32 v17, v23, v17
	v_fma_f16 v25, v59, s1, -v25
	v_add_f16_e32 v18, v29, v18
	s_mov_b32 s1, 0xb8d2
	v_mul_f16_e32 v29, 0xba62, v43
	v_pack_b32_f16 v80, v44, v44
	v_pack_b32_f16 v85, v43, v43
	v_add_f16_e32 v17, v25, v17
	v_mul_f16_e32 v25, 0xb461, v44
	v_fma_f16 v28, v44, s15, -v28
	v_fma_f16 v44, v42, s1, -v29
	v_mul_f16_e32 v43, 0xb836, v43
	s_mov_b32 s8, 0xbacd
	v_pack_b32_f16 v83, v42, v42
	v_pk_mul_f16 v84, v42, s17 op_sel_hi:[0,1]
	v_add_f16_e32 v17, v28, v17
	v_mul_f16_e32 v28, 0xb8d2, v42
	v_add_f16_e32 v15, v44, v15
	v_fma_f16 v44, v42, s8, v43
	v_fma_f16 v42, v42, s8, -v43
	v_mul_f16_e32 v43, 0xb836, v41
	v_pack_b32_f16 v88, v41, v41
	v_add_f16_e32 v18, v44, v18
	v_fma_f16 v44, v40, s8, -v43
	v_mul_f16_e32 v41, 0x3a62, v41
	v_pack_b32_f16 v86, v40, v40
	v_pk_mul_f16 v87, v40, s18 op_sel_hi:[0,1]
	v_add_f16_e32 v17, v42, v17
	v_mul_f16_e32 v42, 0xbacd, v40
	v_add_f16_e32 v15, v44, v15
	v_fma_f16 v44, v40, s1, v41
	v_fma_f16 v40, v40, s1, -v41
	v_mul_f16_e32 v41, 0xb1e1, v31
	v_pack_b32_f16 v82, v58, v58
	v_fma_f16 v58, v30, s14, -v41
	s_mov_b32 s0, 0x5040100
	v_add_f16_e32 v58, v58, v15
	v_add_f16_e32 v15, v68, v32
	v_perm_b32 v70, v12, v12, s0
	v_add_f16_e32 v12, v12, v15
	v_add_f16_e32 v15, v72, v33
	;; [unrolled: 1-line block ×8, first 2 shown]
	v_mul_f16_e32 v13, 0x3b76, v65
	v_add_f16_e32 v12, v15, v12
	v_add_f16_e32 v15, v84, v38
	s_mov_b32 s1, 0xffff
	v_mul_f16_e32 v19, 0x39e9, v63
	v_add_f16_e32 v15, v15, v12
	v_bfi_b32 v12, s1, v13, v68
	v_bfi_b32 v13, s1, v14, v32
	v_pk_add_f16 v12, v12, v13
	v_bfi_b32 v13, s1, v19, v72
	v_bfi_b32 v14, s1, v20, v33
	v_mul_f16_e32 v21, 0x3722, v61
	v_pk_add_f16 v12, v70, v12
	v_pk_add_f16 v13, v13, v14
	;; [unrolled: 1-line block ×3, first 2 shown]
	v_bfi_b32 v13, s1, v21, v75
	v_bfi_b32 v14, s1, v22, v35
	v_mul_f16_e32 v23, 0x2de8, v59
	v_pk_add_f16 v13, v13, v14
	v_pk_add_f16 v12, v13, v12
	v_bfi_b32 v13, s1, v23, v78
	v_bfi_b32 v14, s1, v24, v36
	v_pk_add_f16 v13, v13, v14
	v_pk_add_f16 v12, v13, v12
	v_bfi_b32 v13, s1, v25, v81
	v_bfi_b32 v14, s1, v26, v37
	;; [unrolled: 4-line block ×4, first 2 shown]
	v_pk_mul_f16 v90, v30, s19 op_sel_hi:[0,1]
	v_add_f16_e32 v17, v40, v17
	v_mul_f16_e32 v40, 0xbbdd, v30
	v_pk_add_f16 v13, v13, v14
	v_pk_add_f16 v12, v13, v12
	v_bfi_b32 v13, s1, v40, v90
	v_bfi_b32 v14, s1, v41, v34
	v_pk_add_f16 v13, v13, v14
	v_pack_b32_f16 v77, v59, v59
	v_pk_add_f16 v59, v87, v39
	v_pk_add_f16 v12, v13, v12
	v_mul_f16_e32 v13, 0x39e9, v30
	v_mul_f16_e32 v14, 0x3964, v31
	v_pack_b32_f16 v69, v66, v66
	v_perm_b32 v19, v44, v90, s0
	v_perm_b32 v18, v18, v34, s0
	v_pack_b32_f16 v13, v59, v13
	v_pack_b32_f16 v15, v15, v14
	s_mov_b32 s8, 0xba62bbb2
	v_pack_b32_f16 v67, v65, v65
	v_pack_b32_f16 v73, v64, v64
	v_pk_add_f16 v18, v19, v18
	v_pk_add_f16 v13, v13, v15
	v_fma_f16 v14, v30, s9, -v14
	s_mov_b32 s1, 0xb8d2b461
	v_pk_mul_f16 v15, v69, s8
	s_mov_b32 s9, 0x3bb23836
	v_pack_b32_f16 v71, v63, v63
	v_pk_add_f16 v13, v13, v18
	v_add_f16_e32 v17, v14, v17
	v_pk_fma_f16 v14, v67, s1, v15
	s_mov_b32 s8, 0xb461bacd
	v_pk_mul_f16 v18, v73, s9
	v_pack_b32_f16 v76, v62, v62
	v_pk_add_f16 v14, v70, v14
	v_pk_fma_f16 v19, v71, s8, v18
	s_mov_b32 s14, 0xb5c83964
	v_pack_b32_f16 v74, v61, v61
	v_pk_add_f16 v14, v19, v14
	s_mov_b32 s9, 0x3b7639e9
	v_pk_mul_f16 v19, v76, s14
	v_pack_b32_f16 v79, v60, v60
	v_pk_fma_f16 v20, v74, s9, v19
	s_mov_b32 s15, 0xb836bb29
	v_pk_add_f16 v14, v20, v14
	s_mov_b32 s14, 0xbacd3722
	v_pk_mul_f16 v20, v79, s15
	v_pk_fma_f16 v21, v77, s14, v20
	s_mov_b32 s16, 0x3bf7b1e1
	v_pk_add_f16 v14, v21, v14
	s_mov_b32 s15, 0x2de8bbdd
	v_pk_mul_f16 v21, v82, s16
	v_pk_fma_f16 v15, v67, s1, v15 neg_lo:[0,0,1] neg_hi:[0,0,1]
	v_pk_fma_f16 v22, v80, s15, v21
	s_mov_b32 s17, 0xb9643bf7
	v_pk_add_f16 v15, v70, v15
	v_pk_fma_f16 v18, v71, s8, v18 neg_lo:[0,0,1] neg_hi:[0,0,1]
	v_pk_add_f16 v14, v22, v14
	s_mov_b32 s16, 0x39e92de8
	v_pk_mul_f16 v22, v85, s17
	v_pk_add_f16 v15, v18, v15
	v_pk_fma_f16 v18, v74, s9, v19 neg_lo:[0,0,1] neg_hi:[0,0,1]
	v_pk_fma_f16 v23, v83, s16, v22
	s_mov_b32 s18, 0xb1e1b5c8
	v_pk_add_f16 v15, v18, v15
	v_pk_fma_f16 v18, v77, s14, v20 neg_lo:[0,0,1] neg_hi:[0,0,1]
	v_pk_add_f16 v14, v23, v14
	s_mov_b32 s17, 0xbbdd3b76
	v_pk_mul_f16 v23, v88, s18
	v_pk_add_f16 v15, v18, v15
	v_pk_fma_f16 v18, v80, s15, v21 neg_lo:[0,0,1] neg_hi:[0,0,1]
	v_pack_b32_f16 v91, v31, v31
	v_pk_fma_f16 v24, v86, s17, v23
	s_mov_b32 s19, 0x3b29ba62
	v_pk_add_f16 v15, v18, v15
	v_pk_fma_f16 v18, v83, s16, v22 neg_lo:[0,0,1] neg_hi:[0,0,1]
	v_pack_b32_f16 v89, v30, v30
	v_pk_add_f16 v14, v24, v14
	s_mov_b32 s18, 0x3722b8d2
	v_pk_mul_f16 v24, v91, s19
	v_pk_add_f16 v15, v18, v15
	v_pk_fma_f16 v18, v86, s17, v23 neg_lo:[0,0,1] neg_hi:[0,0,1]
	s_mov_b32 s8, 0xb1e1b836
	v_pk_add_f16 v15, v18, v15
	v_pk_fma_f16 v18, v89, s18, v24 neg_lo:[0,0,1] neg_hi:[0,0,1]
	s_mov_b32 s1, 0xbbddbacd
	v_pk_mul_f16 v19, v69, s8
	s_mov_b32 s9, 0x35c83b29
	v_pk_add_f16 v18, v18, v15
	v_pk_fma_f16 v15, v67, s1, v19
	s_mov_b32 s8, 0x3b763722
	v_pk_mul_f16 v20, v73, s9
	v_pk_add_f16 v15, v70, v15
	v_pk_fma_f16 v21, v71, s8, v20
	s_mov_b32 s14, 0xb836bbf7
	v_pk_add_f16 v15, v21, v15
	s_mov_b32 s9, 0xbacd2de8
	v_pk_mul_f16 v21, v76, s14
	v_pk_fma_f16 v22, v74, s9, v21
	s_mov_b32 s15, 0x39643a62
	v_pk_add_f16 v15, v22, v15
	s_mov_b32 s14, 0x39e9b8d2
	v_pk_mul_f16 v22, v79, s15
	;; [unrolled: 5-line block ×3, first 2 shown]
	v_pk_fma_f16 v19, v67, s1, v19 neg_lo:[0,0,1] neg_hi:[0,0,1]
	v_pk_fma_f16 v25, v89, s18, v24
	v_pk_fma_f16 v24, v80, s15, v23
	s_mov_b32 s17, 0x3b29b1e1
	v_pk_add_f16 v19, v70, v19
	v_pk_fma_f16 v20, v71, s8, v20 neg_lo:[0,0,1] neg_hi:[0,0,1]
	v_pk_add_f16 v15, v24, v15
	s_mov_b32 s16, 0x3722bbdd
	v_pk_mul_f16 v24, v85, s17
	v_pk_add_f16 v19, v20, v19
	v_pk_fma_f16 v20, v74, s9, v21 neg_lo:[0,0,1] neg_hi:[0,0,1]
	v_pk_add_f16 v14, v25, v14
	v_pk_fma_f16 v25, v83, s16, v24
	s_mov_b32 s18, 0xbbb23964
	v_pk_add_f16 v19, v20, v19
	v_pk_fma_f16 v20, v77, s14, v22 neg_lo:[0,0,1] neg_hi:[0,0,1]
	v_pk_add_f16 v15, v25, v15
	s_mov_b32 s17, 0xb46139e9
	v_pk_mul_f16 v25, v88, s18
	v_pk_add_f16 v19, v20, v19
	v_pk_fma_f16 v20, v80, s15, v23 neg_lo:[0,0,1] neg_hi:[0,0,1]
	v_pk_fma_f16 v26, v86, s17, v25
	s_mov_b32 s19, 0x3bf7bbb2
	v_pk_add_f16 v19, v20, v19
	v_pk_fma_f16 v20, v83, s16, v24 neg_lo:[0,0,1] neg_hi:[0,0,1]
	v_pk_add_f16 v15, v26, v15
	s_mov_b32 s18, 0x2de8b461
	v_pk_mul_f16 v26, v91, s19
	v_pk_add_f16 v19, v20, v19
	v_pk_fma_f16 v20, v86, s17, v25 neg_lo:[0,0,1] neg_hi:[0,0,1]
	v_pk_add_f16 v19, v20, v19
	v_pk_fma_f16 v20, v89, s18, v26 neg_lo:[0,0,1] neg_hi:[0,0,1]
	v_pk_add_f16 v19, v20, v19
	v_lshlrev_b32_e32 v20, 5, v6
	v_pk_fma_f16 v28, v89, s18, v26
	v_add3_u32 v20, v11, v20, v7
	v_pk_add_f16 v15, v28, v15
	ds_write_b16 v20, v16
	ds_write_b128 v20, v[12:15] offset:2
	v_alignbit_b32 v12, v18, v18, 16
	v_alignbit_b32 v11, v19, v19, 16
	v_perm_b32 v13, v27, v17, s0
	v_alignbit_b32 v14, v58, v27, 16
	ds_write_b128 v20, v[11:14] offset:18
.LBB0_16:
	s_or_b64 exec, exec, s[6:7]
	s_waitcnt lgkmcnt(0)
	s_barrier
	ds_read_u16 v15, v2
	ds_read_u16 v16, v10 offset:68
	ds_read_u16 v17, v10 offset:136
	;; [unrolled: 1-line block ×13, first 2 shown]
	s_and_saveexec_b64 s[0:1], s[2:3]
	s_cbranch_execz .LBB0_18
; %bb.17:
	ds_read_u16 v11, v10 offset:476
	ds_read_u16 v12, v10 offset:986
	s_mov_b32 s6, 0x5040100
	s_waitcnt lgkmcnt(0)
	v_perm_b32 v27, v12, v11, s6
.LBB0_18:
	s_or_b64 exec, exec, s[0:1]
	v_subrev_u32_e32 v13, 17, v6
	v_cndmask_b32_e64 v40, v13, v6, s[2:3]
	v_mov_b32_e32 v41, 0
	v_lshlrev_b64 v[13:14], 2, v[40:41]
	v_mov_b32_e32 v31, s13
	v_add_co_u32_e64 v30, s[0:1], s12, v13
	v_addc_co_u32_e64 v31, s[0:1], v31, v14, s[0:1]
	v_add_u32_e32 v12, 34, v6
	s_movk_i32 s0, 0xf1
	v_mul_lo_u16_sdwa v13, v12, s0 dst_sel:DWORD dst_unused:UNUSED_PAD src0_sel:BYTE_0 src1_sel:DWORD
	v_lshrrev_b16_e32 v41, 12, v13
	v_add_u32_e32 v11, 0x44, v6
	v_mul_lo_u16_e32 v13, 17, v41
	v_sub_u16_e32 v42, v12, v13
	v_mul_lo_u16_sdwa v13, v11, s0 dst_sel:DWORD dst_unused:UNUSED_PAD src0_sel:BYTE_0 src1_sel:DWORD
	v_lshrrev_b16_e32 v44, 12, v13
	v_mul_lo_u16_e32 v13, 17, v44
	v_add_u16_e32 v14, 0x66, v6
	v_sub_u16_e32 v58, v11, v13
	v_mul_lo_u16_sdwa v13, v14, s0 dst_sel:DWORD dst_unused:UNUSED_PAD src0_sel:BYTE_0 src1_sel:DWORD
	v_lshrrev_b16_e32 v60, 12, v13
	v_mul_lo_u16_e32 v13, 17, v60
	v_sub_u16_e32 v61, v14, v13
	v_add_u16_e32 v13, 0x88, v6
	v_mul_lo_u16_sdwa v33, v13, s0 dst_sel:DWORD dst_unused:UNUSED_PAD src0_sel:BYTE_0 src1_sel:DWORD
	v_lshrrev_b16_e32 v63, 12, v33
	v_mul_lo_u16_e32 v33, 17, v63
	v_sub_u16_e32 v64, v13, v33
	v_add_u16_e32 v33, 0xaa, v6
	;; [unrolled: 5-line block ×3, first 2 shown]
	global_load_dword v38, v[30:31], off
	v_mul_lo_u16_sdwa v34, v33, s0 dst_sel:DWORD dst_unused:UNUSED_PAD src0_sel:BYTE_0 src1_sel:DWORD
	v_lshrrev_b16_e32 v69, 12, v34
	v_mul_lo_u16_e32 v34, 17, v69
	v_mov_b32_e32 v32, 2
	v_sub_u16_e32 v70, v33, v34
	v_lshlrev_b32_sdwa v43, v32, v42 dst_sel:DWORD dst_unused:UNUSED_PAD src0_sel:DWORD src1_sel:BYTE_0
	v_lshlrev_b32_sdwa v30, v32, v70 dst_sel:DWORD dst_unused:UNUSED_PAD src0_sel:DWORD src1_sel:BYTE_0
	;; [unrolled: 1-line block ×6, first 2 shown]
	global_load_dword v39, v43, s[12:13]
	global_load_dword v37, v59, s[12:13]
	;; [unrolled: 1-line block ×6, first 2 shown]
	v_add_u32_e32 v30, 0xee, v6
	s_mov_b32 s0, 0xf0f1
	v_mul_u32_u24_sdwa v31, v30, s0 dst_sel:DWORD dst_unused:UNUSED_PAD src0_sel:WORD_0 src1_sel:DWORD
	v_lshrrev_b32_e32 v31, 20, v31
	v_mul_lo_u16_e32 v31, 17, v31
	v_sub_u16_e32 v59, v30, v31
	v_lshlrev_b32_e32 v30, 2, v59
	global_load_dword v30, v30, s[12:13]
	v_mov_b32_e32 v74, 0x44
	v_cmp_lt_u32_e64 s[0:1], 16, v6
	v_cndmask_b32_e64 v74, 0, v74, s[0:1]
	v_add_u32_e32 v74, 0, v74
	v_lshlrev_b32_e32 v40, 1, v40
	v_add3_u32 v40, v74, v40, v7
	s_load_dwordx2 s[4:5], s[4:5], 0x0
	s_movk_i32 s6, 0x44
	s_waitcnt vmcnt(0) lgkmcnt(0)
	s_barrier
	v_mad_u32_u24 v41, v41, s6, 0
	v_lshrrev_b32_e32 v31, 16, v27
	v_lshrrev_b32_e32 v32, 16, v3
	v_mul_f16_sdwa v43, v26, v38 dst_sel:DWORD dst_unused:UNUSED_PAD src0_sel:DWORD src1_sel:WORD_1
	v_fma_f16 v43, v48, v38, -v43
	v_sub_f16_e32 v43, v57, v43
	v_fma_f16 v57, v57, 2.0, -v43
	ds_write_b16 v40, v57
	ds_write_b16 v40, v43 offset:34
	v_mov_b32_e32 v57, 1
	v_lshlrev_b32_sdwa v42, v57, v42 dst_sel:DWORD dst_unused:UNUSED_PAD src0_sel:DWORD src1_sel:BYTE_0
	v_mul_f16_sdwa v62, v29, v39 dst_sel:DWORD dst_unused:UNUSED_PAD src0_sel:DWORD src1_sel:WORD_1
	v_mul_f16_sdwa v65, v28, v37 dst_sel:DWORD dst_unused:UNUSED_PAD src0_sel:DWORD src1_sel:WORD_1
	v_fma_f16 v62, v50, v39, -v62
	v_mul_f16_sdwa v68, v25, v36 dst_sel:DWORD dst_unused:UNUSED_PAD src0_sel:DWORD src1_sel:WORD_1
	v_fma_f16 v65, v49, v37, -v65
	v_sub_f16_e32 v62, v51, v62
	v_add3_u32 v41, v41, v42, v7
	v_mad_u32_u24 v42, v44, s6, 0
	v_lshlrev_b32_sdwa v43, v57, v58 dst_sel:DWORD dst_unused:UNUSED_PAD src0_sel:DWORD src1_sel:BYTE_0
	v_fma_f16 v68, v47, v36, -v68
	v_sub_f16_e32 v65, v52, v65
	v_fma_f16 v51, v51, 2.0, -v62
	v_add3_u32 v42, v42, v43, v7
	v_mad_u32_u24 v43, v60, s6, 0
	v_lshlrev_b32_sdwa v44, v57, v61 dst_sel:DWORD dst_unused:UNUSED_PAD src0_sel:DWORD src1_sel:BYTE_0
	v_mul_f16_sdwa v71, v24, v35 dst_sel:DWORD dst_unused:UNUSED_PAD src0_sel:DWORD src1_sel:WORD_1
	v_mul_f16_sdwa v72, v23, v34 dst_sel:DWORD dst_unused:UNUSED_PAD src0_sel:DWORD src1_sel:WORD_1
	;; [unrolled: 1-line block ×3, first 2 shown]
	v_sub_f16_e32 v68, v53, v68
	v_fma_f16 v52, v52, 2.0, -v65
	ds_write_b16 v41, v51
	ds_write_b16 v41, v62 offset:34
	v_add3_u32 v43, v43, v44, v7
	v_mad_u32_u24 v44, v63, s6, 0
	v_lshlrev_b32_sdwa v51, v57, v64 dst_sel:DWORD dst_unused:UNUSED_PAD src0_sel:DWORD src1_sel:BYTE_0
	v_fma_f16 v71, v46, v35, -v71
	v_fma_f16 v72, v45, v34, -v72
	;; [unrolled: 1-line block ×3, first 2 shown]
	v_fma_f16 v53, v53, 2.0, -v68
	ds_write_b16 v42, v52
	ds_write_b16 v42, v65 offset:34
	v_add3_u32 v51, v44, v51, v7
	v_mad_u32_u24 v44, v66, s6, 0
	v_lshlrev_b32_sdwa v52, v57, v67 dst_sel:DWORD dst_unused:UNUSED_PAD src0_sel:DWORD src1_sel:BYTE_0
	v_sub_f16_e32 v71, v54, v71
	v_sub_f16_e32 v72, v55, v72
	;; [unrolled: 1-line block ×3, first 2 shown]
	ds_write_b16 v43, v53
	ds_write_b16 v43, v68 offset:34
	v_add3_u32 v52, v44, v52, v7
	v_mad_u32_u24 v44, v69, s6, 0
	v_lshlrev_b32_sdwa v53, v57, v70 dst_sel:DWORD dst_unused:UNUSED_PAD src0_sel:DWORD src1_sel:BYTE_0
	v_fma_f16 v54, v54, 2.0, -v71
	v_fma_f16 v55, v55, 2.0, -v72
	;; [unrolled: 1-line block ×3, first 2 shown]
	v_add3_u32 v53, v44, v53, v7
	v_lshlrev_b32_e32 v44, 1, v59
	ds_write_b16 v51, v54
	ds_write_b16 v51, v71 offset:34
	ds_write_b16 v52, v55
	ds_write_b16 v52, v72 offset:34
	;; [unrolled: 2-line block ×3, first 2 shown]
	s_and_saveexec_b64 s[0:1], s[2:3]
	s_cbranch_execz .LBB0_20
; %bb.19:
	v_mul_f16_sdwa v54, v31, v30 dst_sel:DWORD dst_unused:UNUSED_PAD src0_sel:DWORD src1_sel:WORD_1
	v_fma_f16 v54, v32, v30, -v54
	v_sub_f16_e32 v54, v3, v54
	v_fma_f16 v3, v3, 2.0, -v54
	v_add3_u32 v55, 0, v44, v7
	ds_write_b16 v55, v3 offset:952
	ds_write_b16 v55, v54 offset:986
.LBB0_20:
	s_or_b64 exec, exec, s[0:1]
	v_mul_f16_sdwa v3, v48, v38 dst_sel:DWORD dst_unused:UNUSED_PAD src0_sel:DWORD src1_sel:WORD_1
	v_fma_f16 v3, v26, v38, v3
	v_mul_f16_sdwa v26, v50, v39 dst_sel:DWORD dst_unused:UNUSED_PAD src0_sel:DWORD src1_sel:WORD_1
	v_fma_f16 v26, v29, v39, v26
	;; [unrolled: 2-line block ×5, first 2 shown]
	v_mul_f16_sdwa v29, v45, v34 dst_sel:DWORD dst_unused:UNUSED_PAD src0_sel:DWORD src1_sel:WORD_1
	v_mul_f16_sdwa v1, v1, v33 dst_sel:DWORD dst_unused:UNUSED_PAD src0_sel:DWORD src1_sel:WORD_1
	v_fma_f16 v23, v23, v34, v29
	v_fma_f16 v1, v22, v33, v1
	v_sub_f16_e32 v33, v15, v3
	v_sub_f16_e32 v35, v16, v26
	;; [unrolled: 1-line block ×7, first 2 shown]
	v_fma_f16 v34, v15, 2.0, -v33
	v_fma_f16 v36, v16, 2.0, -v35
	;; [unrolled: 1-line block ×7, first 2 shown]
	s_waitcnt lgkmcnt(0)
	s_barrier
	ds_read_u16 v25, v10 offset:408
	ds_read_u16 v19, v10 offset:476
	ds_read_u16 v18, v2
	ds_read_u16 v17, v10 offset:68
	ds_read_u16 v16, v10 offset:136
	;; [unrolled: 1-line block ×12, first 2 shown]
	s_waitcnt lgkmcnt(0)
	s_barrier
	ds_write_b16 v40, v34
	ds_write_b16 v40, v33 offset:34
	ds_write_b16 v41, v36
	ds_write_b16 v41, v35 offset:34
	;; [unrolled: 2-line block ×7, first 2 shown]
	s_and_saveexec_b64 s[0:1], s[2:3]
	s_cbranch_execz .LBB0_22
; %bb.21:
	v_mul_f16_sdwa v1, v32, v30 dst_sel:DWORD dst_unused:UNUSED_PAD src0_sel:DWORD src1_sel:WORD_1
	v_fma_f16 v1, v31, v30, v1
	v_sub_f16_e32 v1, v27, v1
	v_fma_f16 v27, v27, 2.0, -v1
	v_add3_u32 v30, 0, v44, v7
	ds_write_b16 v30, v27 offset:952
	ds_write_b16 v30, v1 offset:986
.LBB0_22:
	s_or_b64 exec, exec, s[0:1]
	v_mov_b32_e32 v1, 0
	v_lshlrev_b64 v[30:31], 2, v[0:1]
	v_mov_b32_e32 v0, s13
	v_add_co_u32_e64 v30, s[0:1], s12, v30
	v_addc_co_u32_e64 v31, s[0:1], v0, v31, s[0:1]
	s_movk_i32 s0, 0xf1
	v_mul_lo_u16_sdwa v33, v14, s0 dst_sel:DWORD dst_unused:UNUSED_PAD src0_sel:BYTE_0 src1_sel:DWORD
	v_lshrrev_b16_e32 v33, 13, v33
	v_mul_lo_u16_e32 v33, 34, v33
	v_mul_lo_u16_sdwa v0, v11, s0 dst_sel:DWORD dst_unused:UNUSED_PAD src0_sel:BYTE_0 src1_sel:DWORD
	v_mov_b32_e32 v27, 3
	v_sub_u16_e32 v36, v14, v33
	v_mul_lo_u16_sdwa v34, v13, s0 dst_sel:DWORD dst_unused:UNUSED_PAD src0_sel:BYTE_0 src1_sel:DWORD
	v_lshrrev_b16_e32 v0, 13, v0
	v_lshlrev_b32_sdwa v14, v27, v36 dst_sel:DWORD dst_unused:UNUSED_PAD src0_sel:DWORD src1_sel:BYTE_0
	v_lshrrev_b16_e32 v37, 13, v34
	s_waitcnt lgkmcnt(0)
	s_barrier
	global_load_dwordx2 v[30:31], v[30:31], off offset:68
	v_mul_lo_u16_e32 v0, 34, v0
	global_load_dwordx2 v[34:35], v14, s[12:13] offset:68
	v_mul_lo_u16_e32 v14, 34, v37
	v_sub_u16_e32 v0, v11, v0
	v_sub_u16_e32 v37, v13, v14
	v_lshlrev_b32_sdwa v32, v27, v0 dst_sel:DWORD dst_unused:UNUSED_PAD src0_sel:DWORD src1_sel:BYTE_0
	v_lshlrev_b32_sdwa v13, v27, v37 dst_sel:DWORD dst_unused:UNUSED_PAD src0_sel:DWORD src1_sel:BYTE_0
	global_load_dwordx2 v[32:33], v32, s[12:13] offset:68
	v_mov_b32_e32 v52, 1
	global_load_dwordx2 v[13:14], v13, s[12:13] offset:68
	ds_read_u16 v27, v10 offset:408
	ds_read_u16 v38, v10 offset:476
	ds_read_u16 v39, v2
	ds_read_u16 v40, v10 offset:68
	ds_read_u16 v41, v10 offset:136
	ds_read_u16 v42, v10 offset:204
	ds_read_u16 v43, v10 offset:544
	ds_read_u16 v44, v10 offset:340
	ds_read_u16 v45, v10 offset:272
	ds_read_u16 v46, v10 offset:748
	ds_read_u16 v47, v10 offset:816
	ds_read_u16 v48, v10 offset:884
	ds_read_u16 v49, v10 offset:952
	ds_read_u16 v50, v10 offset:680
	ds_read_u16 v51, v10 offset:612
	v_lshlrev_b32_sdwa v0, v52, v0 dst_sel:DWORD dst_unused:UNUSED_PAD src0_sel:DWORD src1_sel:BYTE_0
	v_lshlrev_b32_sdwa v36, v52, v36 dst_sel:DWORD dst_unused:UNUSED_PAD src0_sel:DWORD src1_sel:BYTE_0
	;; [unrolled: 1-line block ×3, first 2 shown]
	s_movk_i32 s0, 0x3aee
	s_mov_b32 s1, 0xbaee
	v_add3_u32 v0, 0, v0, v7
	v_add3_u32 v36, 0, v36, v7
	;; [unrolled: 1-line block ×3, first 2 shown]
	s_waitcnt vmcnt(0) lgkmcnt(0)
	s_barrier
	v_mul_f16_sdwa v52, v44, v30 dst_sel:DWORD dst_unused:UNUSED_PAD src0_sel:DWORD src1_sel:WORD_1
	v_mul_f16_sdwa v53, v28, v30 dst_sel:DWORD dst_unused:UNUSED_PAD src0_sel:DWORD src1_sel:WORD_1
	;; [unrolled: 1-line block ×8, first 2 shown]
	v_fma_f16 v28, v28, v30, -v52
	v_fma_f16 v44, v44, v30, v53
	v_fma_f16 v29, v29, v31, -v54
	v_fma_f16 v50, v50, v31, v55
	;; [unrolled: 2-line block ×4, first 2 shown]
	v_mul_f16_sdwa v31, v38, v32 dst_sel:DWORD dst_unused:UNUSED_PAD src0_sel:DWORD src1_sel:WORD_1
	v_mul_f16_sdwa v46, v19, v32 dst_sel:DWORD dst_unused:UNUSED_PAD src0_sel:DWORD src1_sel:WORD_1
	;; [unrolled: 1-line block ×9, first 2 shown]
	v_fma_f16 v19, v19, v32, -v31
	v_fma_f16 v31, v38, v32, v46
	v_fma_f16 v24, v24, v33, -v52
	v_fma_f16 v32, v47, v33, v53
	;; [unrolled: 2-line block ×4, first 2 shown]
	v_fma_f16 v35, v21, v14, -v60
	v_mul_f16_sdwa v21, v21, v14 dst_sel:DWORD dst_unused:UNUSED_PAD src0_sel:DWORD src1_sel:WORD_1
	v_add_f16_e32 v38, v28, v29
	v_fma_f16 v14, v49, v14, v21
	v_add_f16_e32 v21, v18, v28
	v_fma_f16 v18, v38, -0.5, v18
	v_sub_f16_e32 v38, v44, v50
	v_fma_f16 v43, v38, s0, v18
	v_fma_f16 v18, v38, s1, v18
	v_add_f16_e32 v38, v39, v44
	v_add_f16_e32 v44, v44, v50
	v_fma_f16 v39, v44, -0.5, v39
	v_sub_f16_e32 v28, v28, v29
	v_add_f16_e32 v44, v25, v26
	v_add_f16_e32 v21, v21, v29
	v_fma_f16 v29, v28, s1, v39
	v_fma_f16 v28, v28, s0, v39
	v_add_f16_e32 v39, v17, v25
	v_fma_f16 v17, v44, -0.5, v17
	v_sub_f16_e32 v44, v27, v30
	v_fma_f16 v46, v44, s0, v17
	v_fma_f16 v17, v44, s1, v17
	v_add_f16_e32 v44, v40, v27
	v_add_f16_e32 v27, v27, v30
	;; [unrolled: 1-line block ×3, first 2 shown]
	v_fma_f16 v27, v27, -0.5, v40
	v_sub_f16_e32 v25, v25, v26
	v_add_f16_e32 v30, v19, v24
	v_add_f16_e32 v39, v39, v26
	v_fma_f16 v26, v25, s1, v27
	v_fma_f16 v27, v25, s0, v27
	v_add_f16_e32 v25, v16, v19
	v_fma_f16 v16, v30, -0.5, v16
	v_sub_f16_e32 v30, v31, v32
	v_fma_f16 v40, v30, s0, v16
	v_fma_f16 v16, v30, s1, v16
	v_add_f16_e32 v30, v41, v31
	v_add_f16_e32 v31, v31, v32
	;; [unrolled: 1-line block ×3, first 2 shown]
	v_fma_f16 v31, v31, -0.5, v41
	v_sub_f16_e32 v19, v19, v24
	v_add_f16_e32 v24, v20, v22
	v_add_f16_e32 v30, v30, v32
	v_fma_f16 v32, v19, s1, v31
	v_fma_f16 v31, v19, s0, v31
	v_add_f16_e32 v19, v15, v20
	v_fma_f16 v15, v24, -0.5, v15
	v_sub_f16_e32 v24, v33, v34
	v_mul_f16_sdwa v58, v51, v13 dst_sel:DWORD dst_unused:UNUSED_PAD src0_sel:DWORD src1_sel:WORD_1
	v_fma_f16 v41, v24, s0, v15
	v_fma_f16 v15, v24, s1, v15
	v_add_f16_e32 v24, v42, v33
	v_mul_f16_sdwa v59, v23, v13 dst_sel:DWORD dst_unused:UNUSED_PAD src0_sel:DWORD src1_sel:WORD_1
	v_fma_f16 v23, v23, v13, -v58
	v_add_f16_e32 v47, v24, v34
	v_add_f16_e32 v24, v33, v34
	v_fma_f16 v13, v51, v13, v59
	v_add_f16_e32 v19, v19, v22
	v_fma_f16 v24, v24, -0.5, v42
	v_sub_f16_e32 v20, v20, v22
	v_add_f16_e32 v22, v23, v35
	v_fma_f16 v33, v20, s1, v24
	v_fma_f16 v34, v20, s0, v24
	v_add_f16_e32 v20, v3, v23
	v_fma_f16 v3, v22, -0.5, v3
	v_sub_f16_e32 v22, v13, v14
	v_fma_f16 v24, v22, s0, v3
	v_fma_f16 v3, v22, s1, v3
	v_add_f16_e32 v22, v45, v13
	v_add_f16_e32 v13, v13, v14
	;; [unrolled: 1-line block ×4, first 2 shown]
	v_fma_f16 v13, v13, -0.5, v45
	v_sub_f16_e32 v14, v23, v35
	v_fma_f16 v35, v14, s1, v13
	v_fma_f16 v45, v14, s0, v13
	ds_write_b16 v10, v21
	ds_write_b16 v10, v43 offset:68
	ds_write_b16 v10, v18 offset:136
	;; [unrolled: 1-line block ×14, first 2 shown]
	s_waitcnt lgkmcnt(0)
	s_barrier
	ds_read_u16 v3, v2
	ds_read_u16 v16, v10 offset:68
	ds_read_u16 v17, v10 offset:272
	;; [unrolled: 1-line block ×14, first 2 shown]
	v_add_f16_e32 v38, v38, v50
	s_waitcnt lgkmcnt(0)
	s_barrier
	ds_write_b16 v10, v38
	ds_write_b16 v10, v29 offset:68
	ds_write_b16 v10, v28 offset:136
	;; [unrolled: 1-line block ×14, first 2 shown]
	s_waitcnt lgkmcnt(0)
	s_barrier
	s_and_saveexec_b64 s[0:1], vcc
	s_cbranch_execz .LBB0_24
; %bb.23:
	v_lshlrev_b32_e32 v0, 2, v11
	v_lshlrev_b64 v[26:27], 2, v[0:1]
	v_mov_b32_e32 v34, s13
	v_add_co_u32_e32 v26, vcc, s12, v26
	v_addc_co_u32_e32 v27, vcc, v34, v27, vcc
	global_load_dwordx4 v[26:29], v[26:27], off offset:340
	ds_read_u16 v35, v10 offset:544
	v_lshlrev_b32_e32 v0, 2, v12
	v_mul_lo_u32 v32, s5, v8
	v_mul_lo_u32 v33, s4, v9
	v_mad_u64_u32 v[8:9], s[0:1], s4, v8, 0
	ds_read_u16 v36, v10 offset:476
	ds_read_u16 v37, v10 offset:408
	;; [unrolled: 1-line block ×13, first 2 shown]
	v_lshlrev_b64 v[30:31], 2, v[0:1]
	v_add3_u32 v9, v9, v33, v32
	v_add_co_u32_e32 v30, vcc, s12, v30
	v_addc_co_u32_e32 v31, vcc, v34, v31, vcc
	global_load_dwordx4 v[30:33], v[30:31], off offset:340
	s_movk_i32 s0, 0x3b9c
	s_mov_b32 s3, 0xbb9c
	s_movk_i32 s1, 0x38b4
	s_mov_b32 s4, 0xb8b4
	s_movk_i32 s2, 0x34f2
	ds_read_u16 v2, v2
	s_waitcnt vmcnt(1)
	v_mul_f16_sdwa v0, v22, v26 dst_sel:DWORD dst_unused:UNUSED_PAD src0_sel:DWORD src1_sel:WORD_1
	v_mul_f16_sdwa v48, v25, v27 dst_sel:DWORD dst_unused:UNUSED_PAD src0_sel:DWORD src1_sel:WORD_1
	;; [unrolled: 1-line block ×4, first 2 shown]
	s_waitcnt lgkmcnt(14)
	v_mul_f16_sdwa v51, v35, v27 dst_sel:DWORD dst_unused:UNUSED_PAD src0_sel:DWORD src1_sel:WORD_1
	s_waitcnt lgkmcnt(3)
	v_mul_f16_sdwa v52, v46, v28 dst_sel:DWORD dst_unused:UNUSED_PAD src0_sel:DWORD src1_sel:WORD_1
	v_mul_f16_sdwa v53, v38, v26 dst_sel:DWORD dst_unused:UNUSED_PAD src0_sel:DWORD src1_sel:WORD_1
	;; [unrolled: 1-line block ×3, first 2 shown]
	v_fma_f16 v0, v38, v26, v0
	v_fma_f16 v35, v35, v27, v48
	;; [unrolled: 1-line block ×4, first 2 shown]
	v_fma_f16 v27, v25, v27, -v51
	v_fma_f16 v28, v24, v28, -v52
	v_fma_f16 v26, v22, v26, -v53
	v_fma_f16 v29, v23, v29, -v54
	v_sub_f16_e32 v22, v0, v35
	v_sub_f16_e32 v23, v38, v43
	v_add_f16_e32 v46, v35, v43
	v_sub_f16_e32 v48, v26, v27
	v_sub_f16_e32 v49, v29, v28
	v_add_f16_e32 v50, v27, v28
	v_add_f16_e32 v55, v0, v38
	v_sub_f16_e32 v24, v27, v28
	v_sub_f16_e32 v53, v35, v0
	;; [unrolled: 1-line block ×5, first 2 shown]
	v_add_f16_e32 v22, v22, v23
	v_fma_f16 v23, v46, -0.5, v41
	v_add_f16_e32 v46, v48, v49
	v_fma_f16 v48, v50, -0.5, v21
	v_fma_f16 v50, v55, -0.5, v41
	v_sub_f16_e32 v25, v26, v29
	v_add_f16_e32 v58, v26, v29
	v_add_f16_e32 v49, v53, v54
	;; [unrolled: 1-line block ×3, first 2 shown]
	v_fma_f16 v57, v24, s3, v50
	v_fma_f16 v50, v24, s0, v50
	v_sub_f16_e32 v52, v35, v43
	v_fma_f16 v54, v58, -0.5, v21
	v_fma_f16 v57, v25, s1, v57
	v_fma_f16 v50, v25, s4, v50
	v_sub_f16_e32 v51, v0, v38
	v_fma_f16 v55, v25, s0, v23
	v_fma_f16 v58, v52, s0, v54
	;; [unrolled: 1-line block ×16, first 2 shown]
	v_add_f16_e32 v0, v0, v41
	v_fma_f16 v56, v52, s4, v56
	v_fma_f16 v22, v52, s1, v22
	v_add_f16_e32 v35, v35, v0
	v_lshlrev_b32_e32 v0, 2, v6
	v_fma_f16 v56, v46, s2, v56
	v_fma_f16 v46, v46, s2, v22
	v_lshlrev_b64 v[22:23], 2, v[0:1]
	v_add_f16_e32 v0, v43, v35
	v_add_co_u32_e32 v22, vcc, s12, v22
	v_addc_co_u32_e32 v23, vcc, v34, v23, vcc
	global_load_dwordx4 v[22:25], v[22:23], off offset:340
	v_add_f16_e32 v34, v38, v0
	v_add_f16_e32 v0, v21, v26
	;; [unrolled: 1-line block ×5, first 2 shown]
	s_waitcnt vmcnt(1)
	v_mul_f16_sdwa v0, v17, v30 dst_sel:DWORD dst_unused:UNUSED_PAD src0_sel:DWORD src1_sel:WORD_1
	v_mul_f16_sdwa v26, v19, v31 dst_sel:DWORD dst_unused:UNUSED_PAD src0_sel:DWORD src1_sel:WORD_1
	;; [unrolled: 1-line block ×4, first 2 shown]
	v_fma_f16 v0, v39, v30, v0
	v_fma_f16 v26, v36, v31, v26
	;; [unrolled: 1-line block ×3, first 2 shown]
	s_waitcnt lgkmcnt(2)
	v_fma_f16 v29, v47, v32, v29
	v_sub_f16_e32 v27, v0, v26
	v_sub_f16_e32 v35, v28, v29
	v_add_f16_e32 v27, v27, v35
	v_mul_f16_sdwa v35, v36, v31 dst_sel:DWORD dst_unused:UNUSED_PAD src0_sel:DWORD src1_sel:WORD_1
	v_fma_f16 v19, v19, v31, -v35
	v_mul_f16_sdwa v31, v47, v32 dst_sel:DWORD dst_unused:UNUSED_PAD src0_sel:DWORD src1_sel:WORD_1
	v_fma_f16 v18, v18, v32, -v31
	;; [unrolled: 2-line block ×3, first 2 shown]
	v_mul_f16_sdwa v30, v44, v33 dst_sel:DWORD dst_unused:UNUSED_PAD src0_sel:DWORD src1_sel:WORD_1
	v_sub_f16_e32 v43, v26, v0
	v_sub_f16_e32 v44, v29, v28
	;; [unrolled: 1-line block ×3, first 2 shown]
	v_add_f16_e32 v43, v43, v44
	v_add_f16_e32 v44, v0, v28
	v_add_f16_e32 v0, v0, v42
	v_add_f16_e32 v0, v26, v0
	v_add_f16_e32 v0, v29, v0
	v_fma_f16 v20, v20, v33, -v30
	v_add_f16_e32 v32, v26, v29
	v_sub_f16_e32 v41, v26, v29
	v_add_f16_e32 v26, v28, v0
	v_add_f16_e32 v0, v16, v17
	v_sub_f16_e32 v31, v19, v18
	v_sub_f16_e32 v35, v17, v19
	;; [unrolled: 1-line block ×3, first 2 shown]
	v_fma_f16 v44, v44, -0.5, v42
	v_sub_f16_e32 v48, v19, v17
	v_sub_f16_e32 v51, v18, v20
	v_add_f16_e32 v0, v0, v19
	v_sub_f16_e32 v30, v17, v20
	v_fma_f16 v32, v32, -0.5, v42
	v_add_f16_e32 v35, v35, v36
	v_add_f16_e32 v36, v19, v18
	v_fma_f16 v47, v31, s3, v44
	v_add_f16_e32 v48, v48, v51
	v_add_f16_e32 v51, v17, v20
	v_fma_f16 v44, v31, s0, v44
	v_add_f16_e32 v0, v0, v18
	v_fma_f16 v33, v30, s0, v32
	v_fma_f16 v36, v36, -0.5, v16
	v_fma_f16 v47, v30, s1, v47
	v_fma_f16 v51, v51, -0.5, v16
	v_fma_f16 v44, v30, s4, v44
	v_fma_f16 v30, v30, s3, v32
	v_add_f16_e32 v16, v20, v0
	v_fma_f16 v33, v31, s1, v33
	v_fma_f16 v30, v31, s4, v30
	;; [unrolled: 1-line block ×18, first 2 shown]
	s_waitcnt vmcnt(0)
	v_mul_f16_sdwa v0, v7, v22 dst_sel:DWORD dst_unused:UNUSED_PAD src0_sel:DWORD src1_sel:WORD_1
	v_mul_f16_sdwa v17, v13, v23 dst_sel:DWORD dst_unused:UNUSED_PAD src0_sel:DWORD src1_sel:WORD_1
	;; [unrolled: 1-line block ×4, first 2 shown]
	v_fma_f16 v0, v40, v22, v0
	v_fma_f16 v17, v37, v23, v17
	;; [unrolled: 1-line block ×3, first 2 shown]
	s_waitcnt lgkmcnt(1)
	v_fma_f16 v20, v10, v24, v20
	v_sub_f16_e32 v18, v0, v17
	v_sub_f16_e32 v28, v19, v20
	v_add_f16_e32 v18, v18, v28
	v_mul_f16_sdwa v28, v37, v23 dst_sel:DWORD dst_unused:UNUSED_PAD src0_sel:DWORD src1_sel:WORD_1
	v_fma_f16 v13, v13, v23, -v28
	v_mul_f16_sdwa v23, v40, v22 dst_sel:DWORD dst_unused:UNUSED_PAD src0_sel:DWORD src1_sel:WORD_1
	v_sub_f16_e32 v35, v17, v0
	v_sub_f16_e32 v36, v20, v19
	v_mul_f16_sdwa v10, v10, v24 dst_sel:DWORD dst_unused:UNUSED_PAD src0_sel:DWORD src1_sel:WORD_1
	v_fma_f16 v7, v7, v22, -v23
	v_mul_f16_sdwa v22, v45, v25 dst_sel:DWORD dst_unused:UNUSED_PAD src0_sel:DWORD src1_sel:WORD_1
	v_add_f16_e32 v23, v17, v20
	v_add_f16_e32 v35, v35, v36
	;; [unrolled: 1-line block ×3, first 2 shown]
	v_fma_f16 v10, v15, v24, -v10
	v_fma_f16 v14, v14, v25, -v22
	s_waitcnt lgkmcnt(0)
	v_fma_f16 v23, v23, -0.5, v2
	v_sub_f16_e32 v29, v0, v19
	v_fma_f16 v36, v36, -0.5, v2
	v_add_f16_e32 v0, v0, v2
	v_add_f16_e32 v2, v3, v7
	v_sub_f16_e32 v25, v7, v13
	v_sub_f16_e32 v28, v14, v10
	v_sub_f16_e32 v38, v13, v7
	v_sub_f16_e32 v40, v10, v14
	v_add_f16_e32 v2, v2, v13
	v_add_f16_e32 v25, v25, v28
	v_add_f16_e32 v28, v13, v10
	v_add_f16_e32 v38, v38, v40
	v_add_f16_e32 v40, v7, v14
	v_add_f16_e32 v2, v2, v10
	v_sub_f16_e32 v15, v13, v10
	v_fma_f16 v28, v28, -0.5, v3
	v_fma_f16 v40, v40, -0.5, v3
	v_add_f16_e32 v10, v14, v2
	v_lshlrev_b64 v[2:3], 2, v[8:9]
	v_mov_b32_e32 v8, s11
	v_add_co_u32_e32 v9, vcc, s10, v2
	v_addc_co_u32_e32 v8, vcc, v8, v3, vcc
	v_lshlrev_b64 v[2:3], 2, v[4:5]
	v_sub_f16_e32 v22, v7, v14
	v_fma_f16 v37, v15, s3, v36
	v_fma_f16 v36, v15, s0, v36
	;; [unrolled: 1-line block ×6, first 2 shown]
	v_mov_b32_e32 v7, v1
	v_add_co_u32_e32 v4, vcc, v9, v2
	v_fma_f16 v24, v15, s1, v24
	v_fma_f16 v15, v15, s4, v22
	v_add_f16_e32 v0, v17, v0
	v_addc_co_u32_e32 v5, vcc, v8, v3, vcc
	v_lshlrev_b64 v[2:3], 2, v[6:7]
	v_fma_f16 v24, v18, s2, v24
	v_sub_f16_e32 v32, v17, v20
	v_fma_f16 v15, v18, s2, v15
	v_fma_f16 v18, v29, s0, v28
	v_add_f16_e32 v0, v20, v0
	v_fma_f16 v37, v35, s2, v37
	v_fma_f16 v35, v35, s2, v36
	;; [unrolled: 1-line block ×4, first 2 shown]
	v_add_f16_e32 v0, v19, v0
	v_add_co_u32_e32 v2, vcc, v4, v2
	v_fma_f16 v41, v32, s0, v40
	v_fma_f16 v36, v29, s1, v36
	;; [unrolled: 1-line block ×3, first 2 shown]
	v_addc_co_u32_e32 v3, vcc, v5, v3, vcc
	v_pack_b32_f16 v0, v10, v0
	s_mov_b32 s0, 0xa0a0a0a1
	v_fma_f16 v31, v29, s3, v28
	v_fma_f16 v41, v29, s4, v41
	;; [unrolled: 1-line block ×3, first 2 shown]
	global_store_dword v[2:3], v0, off
	v_pack_b32_f16 v0, v18, v15
	v_mul_hi_u32 v4, v12, s0
	v_fma_f16 v31, v32, s4, v31
	v_fma_f16 v41, v38, s2, v41
	global_store_dword v[2:3], v0, off offset:408
	v_pack_b32_f16 v0, v36, v35
	v_fma_f16 v31, v25, s2, v31
	global_store_dword v[2:3], v0, off offset:816
	v_pack_b32_f16 v0, v41, v37
	global_store_dword v[2:3], v0, off offset:1224
	v_pack_b32_f16 v0, v31, v24
	global_store_dword v[2:3], v0, off offset:1632
	v_lshrrev_b32_e32 v0, 6, v4
	v_mul_u32_u24_e32 v0, 0x198, v0
	v_lshlrev_b64 v[4:5], 2, v[0:1]
	v_pack_b32_f16 v0, v16, v26
	v_add_co_u32_e32 v4, vcc, v2, v4
	v_addc_co_u32_e32 v5, vcc, v3, v5, vcc
	global_store_dword v[4:5], v0, off offset:136
	v_pack_b32_f16 v0, v30, v27
	v_mul_hi_u32 v6, v11, s0
	global_store_dword v[4:5], v0, off offset:544
	v_pack_b32_f16 v0, v44, v43
	global_store_dword v[4:5], v0, off offset:952
	v_pack_b32_f16 v0, v52, v47
	;; [unrolled: 2-line block ×3, first 2 shown]
	global_store_dword v[4:5], v0, off offset:1768
	v_lshrrev_b32_e32 v0, 6, v6
	v_mul_u32_u24_e32 v0, 0x198, v0
	v_lshlrev_b64 v[0:1], 2, v[0:1]
	v_add_co_u32_e32 v0, vcc, v2, v0
	v_addc_co_u32_e32 v1, vcc, v3, v1, vcc
	v_pack_b32_f16 v2, v21, v34
	global_store_dword v[0:1], v2, off offset:272
	v_pack_b32_f16 v2, v46, v53
	global_store_dword v[0:1], v2, off offset:680
	;; [unrolled: 2-line block ×5, first 2 shown]
.LBB0_24:
	s_endpgm
	.section	.rodata,"a",@progbits
	.p2align	6, 0x0
	.amdhsa_kernel fft_rtc_fwd_len510_factors_17_2_3_5_wgs_238_tpt_34_halfLds_half_op_CI_CI_unitstride_sbrr_dirReg
		.amdhsa_group_segment_fixed_size 0
		.amdhsa_private_segment_fixed_size 0
		.amdhsa_kernarg_size 104
		.amdhsa_user_sgpr_count 6
		.amdhsa_user_sgpr_private_segment_buffer 1
		.amdhsa_user_sgpr_dispatch_ptr 0
		.amdhsa_user_sgpr_queue_ptr 0
		.amdhsa_user_sgpr_kernarg_segment_ptr 1
		.amdhsa_user_sgpr_dispatch_id 0
		.amdhsa_user_sgpr_flat_scratch_init 0
		.amdhsa_user_sgpr_private_segment_size 0
		.amdhsa_uses_dynamic_stack 0
		.amdhsa_system_sgpr_private_segment_wavefront_offset 0
		.amdhsa_system_sgpr_workgroup_id_x 1
		.amdhsa_system_sgpr_workgroup_id_y 0
		.amdhsa_system_sgpr_workgroup_id_z 0
		.amdhsa_system_sgpr_workgroup_info 0
		.amdhsa_system_vgpr_workitem_id 0
		.amdhsa_next_free_vgpr 110
		.amdhsa_next_free_sgpr 29
		.amdhsa_reserve_vcc 1
		.amdhsa_reserve_flat_scratch 0
		.amdhsa_float_round_mode_32 0
		.amdhsa_float_round_mode_16_64 0
		.amdhsa_float_denorm_mode_32 3
		.amdhsa_float_denorm_mode_16_64 3
		.amdhsa_dx10_clamp 1
		.amdhsa_ieee_mode 1
		.amdhsa_fp16_overflow 0
		.amdhsa_exception_fp_ieee_invalid_op 0
		.amdhsa_exception_fp_denorm_src 0
		.amdhsa_exception_fp_ieee_div_zero 0
		.amdhsa_exception_fp_ieee_overflow 0
		.amdhsa_exception_fp_ieee_underflow 0
		.amdhsa_exception_fp_ieee_inexact 0
		.amdhsa_exception_int_div_zero 0
	.end_amdhsa_kernel
	.text
.Lfunc_end0:
	.size	fft_rtc_fwd_len510_factors_17_2_3_5_wgs_238_tpt_34_halfLds_half_op_CI_CI_unitstride_sbrr_dirReg, .Lfunc_end0-fft_rtc_fwd_len510_factors_17_2_3_5_wgs_238_tpt_34_halfLds_half_op_CI_CI_unitstride_sbrr_dirReg
                                        ; -- End function
	.section	.AMDGPU.csdata,"",@progbits
; Kernel info:
; codeLenInByte = 12556
; NumSgprs: 33
; NumVgprs: 110
; ScratchSize: 0
; MemoryBound: 0
; FloatMode: 240
; IeeeMode: 1
; LDSByteSize: 0 bytes/workgroup (compile time only)
; SGPRBlocks: 4
; VGPRBlocks: 27
; NumSGPRsForWavesPerEU: 33
; NumVGPRsForWavesPerEU: 110
; Occupancy: 2
; WaveLimiterHint : 1
; COMPUTE_PGM_RSRC2:SCRATCH_EN: 0
; COMPUTE_PGM_RSRC2:USER_SGPR: 6
; COMPUTE_PGM_RSRC2:TRAP_HANDLER: 0
; COMPUTE_PGM_RSRC2:TGID_X_EN: 1
; COMPUTE_PGM_RSRC2:TGID_Y_EN: 0
; COMPUTE_PGM_RSRC2:TGID_Z_EN: 0
; COMPUTE_PGM_RSRC2:TIDIG_COMP_CNT: 0
	.type	__hip_cuid_8d3650ca11cd8426,@object ; @__hip_cuid_8d3650ca11cd8426
	.section	.bss,"aw",@nobits
	.globl	__hip_cuid_8d3650ca11cd8426
__hip_cuid_8d3650ca11cd8426:
	.byte	0                               ; 0x0
	.size	__hip_cuid_8d3650ca11cd8426, 1

	.ident	"AMD clang version 19.0.0git (https://github.com/RadeonOpenCompute/llvm-project roc-6.4.0 25133 c7fe45cf4b819c5991fe208aaa96edf142730f1d)"
	.section	".note.GNU-stack","",@progbits
	.addrsig
	.addrsig_sym __hip_cuid_8d3650ca11cd8426
	.amdgpu_metadata
---
amdhsa.kernels:
  - .args:
      - .actual_access:  read_only
        .address_space:  global
        .offset:         0
        .size:           8
        .value_kind:     global_buffer
      - .offset:         8
        .size:           8
        .value_kind:     by_value
      - .actual_access:  read_only
        .address_space:  global
        .offset:         16
        .size:           8
        .value_kind:     global_buffer
      - .actual_access:  read_only
        .address_space:  global
        .offset:         24
        .size:           8
        .value_kind:     global_buffer
      - .actual_access:  read_only
        .address_space:  global
        .offset:         32
        .size:           8
        .value_kind:     global_buffer
      - .offset:         40
        .size:           8
        .value_kind:     by_value
      - .actual_access:  read_only
        .address_space:  global
        .offset:         48
        .size:           8
        .value_kind:     global_buffer
      - .actual_access:  read_only
        .address_space:  global
        .offset:         56
        .size:           8
        .value_kind:     global_buffer
      - .offset:         64
        .size:           4
        .value_kind:     by_value
      - .actual_access:  read_only
        .address_space:  global
        .offset:         72
        .size:           8
        .value_kind:     global_buffer
      - .actual_access:  read_only
        .address_space:  global
        .offset:         80
        .size:           8
        .value_kind:     global_buffer
      - .actual_access:  read_only
        .address_space:  global
        .offset:         88
        .size:           8
        .value_kind:     global_buffer
      - .actual_access:  write_only
        .address_space:  global
        .offset:         96
        .size:           8
        .value_kind:     global_buffer
    .group_segment_fixed_size: 0
    .kernarg_segment_align: 8
    .kernarg_segment_size: 104
    .language:       OpenCL C
    .language_version:
      - 2
      - 0
    .max_flat_workgroup_size: 238
    .name:           fft_rtc_fwd_len510_factors_17_2_3_5_wgs_238_tpt_34_halfLds_half_op_CI_CI_unitstride_sbrr_dirReg
    .private_segment_fixed_size: 0
    .sgpr_count:     33
    .sgpr_spill_count: 0
    .symbol:         fft_rtc_fwd_len510_factors_17_2_3_5_wgs_238_tpt_34_halfLds_half_op_CI_CI_unitstride_sbrr_dirReg.kd
    .uniform_work_group_size: 1
    .uses_dynamic_stack: false
    .vgpr_count:     110
    .vgpr_spill_count: 0
    .wavefront_size: 64
amdhsa.target:   amdgcn-amd-amdhsa--gfx906
amdhsa.version:
  - 1
  - 2
...

	.end_amdgpu_metadata
